;; amdgpu-corpus repo=ROCm/rocFFT kind=compiled arch=gfx950 opt=O3
	.text
	.amdgcn_target "amdgcn-amd-amdhsa--gfx950"
	.amdhsa_code_object_version 6
	.protected	fft_rtc_back_len768_factors_16_3_16_wgs_48_tpt_48_halfLds_half_ip_CI_sbrr_dirReg ; -- Begin function fft_rtc_back_len768_factors_16_3_16_wgs_48_tpt_48_halfLds_half_ip_CI_sbrr_dirReg
	.globl	fft_rtc_back_len768_factors_16_3_16_wgs_48_tpt_48_halfLds_half_ip_CI_sbrr_dirReg
	.p2align	8
	.type	fft_rtc_back_len768_factors_16_3_16_wgs_48_tpt_48_halfLds_half_ip_CI_sbrr_dirReg,@function
fft_rtc_back_len768_factors_16_3_16_wgs_48_tpt_48_halfLds_half_ip_CI_sbrr_dirReg: ; @fft_rtc_back_len768_factors_16_3_16_wgs_48_tpt_48_halfLds_half_ip_CI_sbrr_dirReg
; %bb.0:
	s_load_dwordx2 s[12:13], s[0:1], 0x18
	s_load_dwordx4 s[4:7], s[0:1], 0x0
	s_load_dwordx2 s[10:11], s[0:1], 0x50
	v_mul_u32_u24_e32 v1, 0x556, v0
	v_add_u32_sdwa v6, s2, v1 dst_sel:DWORD dst_unused:UNUSED_PAD src0_sel:DWORD src1_sel:WORD_1
	s_waitcnt lgkmcnt(0)
	s_load_dwordx2 s[8:9], s[12:13], 0x0
	v_mov_b32_e32 v4, 0
	v_cmp_lt_u64_e64 s[2:3], s[6:7], 2
	v_mov_b32_e32 v7, v4
	s_and_b64 vcc, exec, s[2:3]
	v_mov_b64_e32 v[2:3], 0
	s_cbranch_vccnz .LBB0_8
; %bb.1:
	s_load_dwordx2 s[2:3], s[0:1], 0x10
	s_add_u32 s14, s12, 8
	s_addc_u32 s15, s13, 0
	s_mov_b64 s[16:17], 1
	v_mov_b64_e32 v[2:3], 0
	s_waitcnt lgkmcnt(0)
	s_add_u32 s18, s2, 8
	s_addc_u32 s19, s3, 0
.LBB0_2:                                ; =>This Inner Loop Header: Depth=1
	s_load_dwordx2 s[20:21], s[18:19], 0x0
                                        ; implicit-def: $vgpr8_vgpr9
	s_waitcnt lgkmcnt(0)
	v_or_b32_e32 v5, s21, v7
	v_cmp_ne_u64_e32 vcc, 0, v[4:5]
	s_and_saveexec_b64 s[2:3], vcc
	s_xor_b64 s[22:23], exec, s[2:3]
	s_cbranch_execz .LBB0_4
; %bb.3:                                ;   in Loop: Header=BB0_2 Depth=1
	v_cvt_f32_u32_e32 v1, s20
	v_cvt_f32_u32_e32 v5, s21
	s_sub_u32 s2, 0, s20
	s_subb_u32 s3, 0, s21
	v_fmac_f32_e32 v1, 0x4f800000, v5
	v_rcp_f32_e32 v1, v1
	s_nop 0
	v_mul_f32_e32 v1, 0x5f7ffffc, v1
	v_mul_f32_e32 v5, 0x2f800000, v1
	v_trunc_f32_e32 v5, v5
	v_fmac_f32_e32 v1, 0xcf800000, v5
	v_cvt_u32_f32_e32 v5, v5
	v_cvt_u32_f32_e32 v1, v1
	v_mul_lo_u32 v8, s2, v5
	v_mul_hi_u32 v10, s2, v1
	v_mul_lo_u32 v9, s3, v1
	v_add_u32_e32 v10, v10, v8
	v_mul_lo_u32 v12, s2, v1
	v_add_u32_e32 v13, v10, v9
	v_mul_hi_u32 v8, v1, v12
	v_mul_hi_u32 v11, v1, v13
	v_mul_lo_u32 v10, v1, v13
	v_mov_b32_e32 v9, v4
	v_lshl_add_u64 v[8:9], v[8:9], 0, v[10:11]
	v_mul_hi_u32 v11, v5, v12
	v_mul_lo_u32 v12, v5, v12
	v_add_co_u32_e32 v8, vcc, v8, v12
	v_mul_hi_u32 v10, v5, v13
	s_nop 0
	v_addc_co_u32_e32 v8, vcc, v9, v11, vcc
	v_mov_b32_e32 v9, v4
	s_nop 0
	v_addc_co_u32_e32 v11, vcc, 0, v10, vcc
	v_mul_lo_u32 v10, v5, v13
	v_lshl_add_u64 v[8:9], v[8:9], 0, v[10:11]
	v_add_co_u32_e32 v1, vcc, v1, v8
	v_mul_lo_u32 v10, s2, v1
	s_nop 0
	v_addc_co_u32_e32 v5, vcc, v5, v9, vcc
	v_mul_lo_u32 v8, s2, v5
	v_mul_hi_u32 v9, s2, v1
	v_add_u32_e32 v8, v9, v8
	v_mul_lo_u32 v9, s3, v1
	v_add_u32_e32 v12, v8, v9
	v_mul_hi_u32 v14, v5, v10
	v_mul_lo_u32 v15, v5, v10
	v_mul_hi_u32 v9, v1, v12
	v_mul_lo_u32 v8, v1, v12
	v_mul_hi_u32 v10, v1, v10
	v_mov_b32_e32 v11, v4
	v_lshl_add_u64 v[8:9], v[10:11], 0, v[8:9]
	v_add_co_u32_e32 v8, vcc, v8, v15
	v_mul_hi_u32 v13, v5, v12
	s_nop 0
	v_addc_co_u32_e32 v8, vcc, v9, v14, vcc
	v_mul_lo_u32 v10, v5, v12
	s_nop 0
	v_addc_co_u32_e32 v11, vcc, 0, v13, vcc
	v_mov_b32_e32 v9, v4
	v_lshl_add_u64 v[8:9], v[8:9], 0, v[10:11]
	v_add_co_u32_e32 v1, vcc, v1, v8
	v_mul_hi_u32 v10, v6, v1
	s_nop 0
	v_addc_co_u32_e32 v5, vcc, v5, v9, vcc
	v_mad_u64_u32 v[8:9], s[2:3], v6, v5, 0
	v_mov_b32_e32 v11, v4
	v_lshl_add_u64 v[8:9], v[10:11], 0, v[8:9]
	v_mad_u64_u32 v[12:13], s[2:3], v7, v1, 0
	v_add_co_u32_e32 v1, vcc, v8, v12
	v_mad_u64_u32 v[10:11], s[2:3], v7, v5, 0
	s_nop 0
	v_addc_co_u32_e32 v8, vcc, v9, v13, vcc
	v_mov_b32_e32 v9, v4
	s_nop 0
	v_addc_co_u32_e32 v11, vcc, 0, v11, vcc
	v_lshl_add_u64 v[8:9], v[8:9], 0, v[10:11]
	v_mul_lo_u32 v1, s21, v8
	v_mul_lo_u32 v5, s20, v9
	v_mad_u64_u32 v[10:11], s[2:3], s20, v8, 0
	v_add3_u32 v1, v11, v5, v1
	v_sub_u32_e32 v5, v7, v1
	v_mov_b32_e32 v11, s21
	v_sub_co_u32_e32 v14, vcc, v6, v10
	v_lshl_add_u64 v[12:13], v[8:9], 0, 1
	s_nop 0
	v_subb_co_u32_e64 v5, s[2:3], v5, v11, vcc
	v_subrev_co_u32_e64 v10, s[2:3], s20, v14
	v_subb_co_u32_e32 v1, vcc, v7, v1, vcc
	s_nop 0
	v_subbrev_co_u32_e64 v5, s[2:3], 0, v5, s[2:3]
	v_cmp_le_u32_e64 s[2:3], s21, v5
	v_cmp_le_u32_e32 vcc, s21, v1
	s_nop 0
	v_cndmask_b32_e64 v11, 0, -1, s[2:3]
	v_cmp_le_u32_e64 s[2:3], s20, v10
	s_nop 1
	v_cndmask_b32_e64 v10, 0, -1, s[2:3]
	v_cmp_eq_u32_e64 s[2:3], s21, v5
	s_nop 1
	v_cndmask_b32_e64 v5, v11, v10, s[2:3]
	v_lshl_add_u64 v[10:11], v[8:9], 0, 2
	v_cmp_ne_u32_e64 s[2:3], 0, v5
	s_nop 1
	v_cndmask_b32_e64 v5, v13, v11, s[2:3]
	v_cndmask_b32_e64 v11, 0, -1, vcc
	v_cmp_le_u32_e32 vcc, s20, v14
	s_nop 1
	v_cndmask_b32_e64 v13, 0, -1, vcc
	v_cmp_eq_u32_e32 vcc, s21, v1
	s_nop 1
	v_cndmask_b32_e32 v1, v11, v13, vcc
	v_cmp_ne_u32_e32 vcc, 0, v1
	v_cndmask_b32_e64 v1, v12, v10, s[2:3]
	s_nop 0
	v_cndmask_b32_e32 v9, v9, v5, vcc
	v_cndmask_b32_e32 v8, v8, v1, vcc
.LBB0_4:                                ;   in Loop: Header=BB0_2 Depth=1
	s_andn2_saveexec_b64 s[2:3], s[22:23]
	s_cbranch_execz .LBB0_6
; %bb.5:                                ;   in Loop: Header=BB0_2 Depth=1
	v_cvt_f32_u32_e32 v1, s20
	s_sub_i32 s22, 0, s20
	v_rcp_iflag_f32_e32 v1, v1
	s_nop 0
	v_mul_f32_e32 v1, 0x4f7ffffe, v1
	v_cvt_u32_f32_e32 v1, v1
	v_mul_lo_u32 v5, s22, v1
	v_mul_hi_u32 v5, v1, v5
	v_add_u32_e32 v1, v1, v5
	v_mul_hi_u32 v1, v6, v1
	v_mul_lo_u32 v5, v1, s20
	v_sub_u32_e32 v5, v6, v5
	v_add_u32_e32 v8, 1, v1
	v_subrev_u32_e32 v9, s20, v5
	v_cmp_le_u32_e32 vcc, s20, v5
	s_nop 1
	v_cndmask_b32_e32 v5, v5, v9, vcc
	v_cndmask_b32_e32 v1, v1, v8, vcc
	v_add_u32_e32 v8, 1, v1
	v_cmp_le_u32_e32 vcc, s20, v5
	v_mov_b32_e32 v9, v4
	s_nop 0
	v_cndmask_b32_e32 v8, v1, v8, vcc
.LBB0_6:                                ;   in Loop: Header=BB0_2 Depth=1
	s_or_b64 exec, exec, s[2:3]
	v_mad_u64_u32 v[10:11], s[2:3], v8, s20, 0
	s_load_dwordx2 s[2:3], s[14:15], 0x0
	v_mul_lo_u32 v1, v9, s20
	v_mul_lo_u32 v5, v8, s21
	v_add3_u32 v1, v11, v5, v1
	v_sub_co_u32_e32 v5, vcc, v6, v10
	s_add_u32 s16, s16, 1
	s_nop 0
	v_subb_co_u32_e32 v1, vcc, v7, v1, vcc
	s_addc_u32 s17, s17, 0
	s_waitcnt lgkmcnt(0)
	v_mul_lo_u32 v1, s2, v1
	v_mul_lo_u32 v6, s3, v5
	v_mad_u64_u32 v[2:3], s[2:3], s2, v5, v[2:3]
	s_add_u32 s14, s14, 8
	v_add3_u32 v3, v6, v3, v1
	s_addc_u32 s15, s15, 0
	v_mov_b64_e32 v[6:7], s[6:7]
	s_add_u32 s18, s18, 8
	v_cmp_ge_u64_e32 vcc, s[16:17], v[6:7]
	s_addc_u32 s19, s19, 0
	s_cbranch_vccnz .LBB0_9
; %bb.7:                                ;   in Loop: Header=BB0_2 Depth=1
	v_mov_b64_e32 v[6:7], v[8:9]
	s_branch .LBB0_2
.LBB0_8:
	v_mov_b64_e32 v[8:9], v[6:7]
.LBB0_9:
	s_lshl_b64 s[2:3], s[6:7], 3
	s_add_u32 s2, s12, s2
	s_addc_u32 s3, s13, s3
	s_load_dwordx2 s[6:7], s[2:3], 0x0
	s_load_dwordx2 s[12:13], s[0:1], 0x20
	s_mov_b32 s2, 0x5555556
                                        ; implicit-def: $vgpr7
                                        ; implicit-def: $vgpr12
	s_waitcnt lgkmcnt(0)
	v_mul_lo_u32 v1, s6, v9
	v_mul_lo_u32 v4, s7, v8
	v_mad_u64_u32 v[2:3], s[0:1], s6, v8, v[2:3]
	v_add3_u32 v3, v4, v3, v1
	v_mul_hi_u32 v1, v0, s2
	v_mul_u32_u24_e32 v1, 48, v1
	v_sub_u32_e32 v5, v0, v1
	v_cmp_gt_u64_e32 vcc, s[12:13], v[8:9]
	v_cmp_le_u64_e64 s[0:1], s[12:13], v[8:9]
	v_add_u32_e32 v6, 48, v5
                                        ; implicit-def: $sgpr2
                                        ; implicit-def: $vgpr8
                                        ; implicit-def: $vgpr9
	s_and_saveexec_b64 s[6:7], s[0:1]
	s_xor_b64 s[0:1], exec, s[6:7]
; %bb.10:
	v_add_u32_e32 v6, 48, v5
	v_add_u32_e32 v7, 0x60, v5
	;; [unrolled: 1-line block ×3, first 2 shown]
	v_or_b32_e32 v9, 0xc0, v5
	v_add_u32_e32 v12, 0xf0, v5
	s_mov_b32 s2, 0
; %bb.11:
	s_or_saveexec_b64 s[0:1], s[0:1]
	v_mov_b32_e32 v4, s2
	v_lshl_add_u64 v[0:1], v[2:3], 2, s[10:11]
	v_mov_b32_e32 v14, s2
	v_mov_b32_e32 v16, s2
	;; [unrolled: 1-line block ×8, first 2 shown]
                                        ; implicit-def: $vgpr18
                                        ; implicit-def: $vgpr22
                                        ; implicit-def: $vgpr21
                                        ; implicit-def: $vgpr20
                                        ; implicit-def: $vgpr19
                                        ; implicit-def: $vgpr17
                                        ; implicit-def: $vgpr25
                                        ; implicit-def: $vgpr26
                                        ; implicit-def: $vgpr24
	s_xor_b64 exec, exec, s[0:1]
	s_cbranch_execz .LBB0_13
; %bb.12:
	v_mad_u64_u32 v[2:3], s[2:3], s8, v5, 0
	v_mov_b32_e32 v4, v3
	v_mad_u64_u32 v[8:9], s[2:3], s9, v5, v[4:5]
	v_mov_b32_e32 v3, v8
	v_lshl_add_u64 v[18:19], v[2:3], 2, v[0:1]
	v_mad_u64_u32 v[2:3], s[2:3], s8, v6, 0
	v_mov_b32_e32 v4, v3
	v_mad_u64_u32 v[8:9], s[2:3], s9, v6, v[4:5]
	v_mov_b32_e32 v3, v8
	v_add_u32_e32 v7, 0x60, v5
	v_lshl_add_u64 v[20:21], v[2:3], 2, v[0:1]
	v_mad_u64_u32 v[2:3], s[2:3], s8, v7, 0
	v_mov_b32_e32 v4, v3
	v_mad_u64_u32 v[8:9], s[2:3], s9, v7, v[4:5]
	v_mov_b32_e32 v3, v8
	v_add_u32_e32 v8, 0x90, v5
	v_lshl_add_u64 v[22:23], v[2:3], 2, v[0:1]
	v_mad_u64_u32 v[2:3], s[2:3], s8, v8, 0
	v_mov_b32_e32 v4, v3
	v_mad_u64_u32 v[10:11], s[2:3], s9, v8, v[4:5]
	v_mov_b32_e32 v3, v10
	v_or_b32_e32 v9, 0xc0, v5
	v_lshl_add_u64 v[24:25], v[2:3], 2, v[0:1]
	v_mad_u64_u32 v[2:3], s[2:3], s8, v9, 0
	v_mov_b32_e32 v4, v3
	v_mad_u64_u32 v[10:11], s[2:3], s9, v9, v[4:5]
	v_mov_b32_e32 v3, v10
	v_add_u32_e32 v12, 0xf0, v5
	v_lshl_add_u64 v[26:27], v[2:3], 2, v[0:1]
	v_mad_u64_u32 v[2:3], s[2:3], s8, v12, 0
	v_mov_b32_e32 v4, v3
	v_mad_u64_u32 v[10:11], s[2:3], s9, v12, v[4:5]
	v_mov_b32_e32 v3, v10
	v_add_u32_e32 v10, 0x120, v5
	;; [unrolled: 6-line block ×3, first 2 shown]
	v_lshl_add_u64 v[30:31], v[2:3], 2, v[0:1]
	v_mad_u64_u32 v[2:3], s[2:3], s8, v10, 0
	v_mov_b32_e32 v4, v3
	v_mad_u64_u32 v[10:11], s[2:3], s9, v10, v[4:5]
	v_mov_b32_e32 v3, v10
	v_or_b32_e32 v17, 0x180, v5
	v_lshl_add_u64 v[32:33], v[2:3], 2, v[0:1]
	global_load_dword v14, v[18:19], off
	global_load_dword v3, v[20:21], off
	;; [unrolled: 1-line block ×8, first 2 shown]
	v_mad_u64_u32 v[18:19], s[2:3], s8, v17, 0
	v_mov_b32_e32 v4, v19
	v_mad_u64_u32 v[20:21], s[2:3], s9, v17, v[4:5]
	v_mov_b32_e32 v19, v20
	v_lshl_add_u64 v[18:19], v[18:19], 2, v[0:1]
	v_add_u32_e32 v17, 0x1b0, v5
	global_load_dword v23, v[18:19], off
	v_mad_u64_u32 v[18:19], s[2:3], s8, v17, 0
	v_mov_b32_e32 v4, v19
	v_mad_u64_u32 v[20:21], s[2:3], s9, v17, v[4:5]
	v_mov_b32_e32 v19, v20
	v_add_u32_e32 v17, 0x1e0, v5
	v_lshl_add_u64 v[28:29], v[18:19], 2, v[0:1]
	v_mad_u64_u32 v[18:19], s[2:3], s8, v17, 0
	v_mov_b32_e32 v4, v19
	v_mad_u64_u32 v[20:21], s[2:3], s9, v17, v[4:5]
	v_mov_b32_e32 v19, v20
	v_add_u32_e32 v17, 0x210, v5
	v_lshl_add_u64 v[30:31], v[18:19], 2, v[0:1]
	v_mad_u64_u32 v[18:19], s[2:3], s8, v17, 0
	v_mov_b32_e32 v4, v19
	v_mad_u64_u32 v[20:21], s[2:3], s9, v17, v[4:5]
	v_mov_b32_e32 v19, v20
	v_or_b32_e32 v17, 0x240, v5
	v_lshl_add_u64 v[32:33], v[18:19], 2, v[0:1]
	v_mad_u64_u32 v[18:19], s[2:3], s8, v17, 0
	v_mov_b32_e32 v4, v19
	v_mad_u64_u32 v[20:21], s[2:3], s9, v17, v[4:5]
	v_mov_b32_e32 v19, v20
	v_add_u32_e32 v17, 0x270, v5
	v_lshl_add_u64 v[34:35], v[18:19], 2, v[0:1]
	v_mad_u64_u32 v[18:19], s[2:3], s8, v17, 0
	v_mov_b32_e32 v4, v19
	v_mad_u64_u32 v[20:21], s[2:3], s9, v17, v[4:5]
	v_mov_b32_e32 v19, v20
	v_add_u32_e32 v17, 0x2a0, v5
	;; [unrolled: 6-line block ×3, first 2 shown]
	v_lshl_add_u64 v[38:39], v[18:19], 2, v[0:1]
	v_mad_u64_u32 v[18:19], s[2:3], s8, v17, 0
	v_mov_b32_e32 v4, v19
	v_mad_u64_u32 v[20:21], s[2:3], s9, v17, v[4:5]
	v_mov_b32_e32 v19, v20
	v_lshl_add_u64 v[40:41], v[18:19], 2, v[0:1]
	global_load_dword v17, v[40:41], off
	global_load_dword v26, v[38:39], off
	;; [unrolled: 1-line block ×7, first 2 shown]
	s_mov_b32 s2, 0xffff
	v_mov_b32_e32 v4, v5
	s_waitcnt vmcnt(7)
	v_lshrrev_b32_e32 v18, 16, v23
	s_waitcnt vmcnt(3)
	v_bfi_b32 v24, s2, v23, v22
.LBB0_13:
	s_or_b64 exec, exec, s[0:1]
	s_mov_b32 s0, 0xffff
	s_waitcnt vmcnt(1)
	v_pk_add_f16 v33, v13, v25 op_sel:[1,1] op_sel_hi:[0,0] neg_lo:[0,1] neg_hi:[0,1]
	v_bfi_b32 v23, s0, v14, v16
	v_lshrrev_b32_e32 v28, 16, v13
	v_lshrrev_b32_e32 v34, 16, v33
	v_pk_add_f16 v26, v15, v26 neg_lo:[0,1] neg_hi:[0,1]
	v_pk_add_f16 v24, v23, v24 neg_lo:[0,1] neg_hi:[0,1]
	v_fma_f16 v13, v13, 2.0, -v34
	v_fma_f16 v25, v28, 2.0, -v33
	v_lshrrev_b32_e32 v28, 16, v15
	v_fma_f16 v15, v15, 2.0, -v26
	v_lshrrev_b32_e32 v35, 16, v26
	v_alignbit_b32 v31, s0, v24, 16
	v_fma_f16 v28, v28, 2.0, -v35
	v_sub_f16_e32 v38, v13, v15
	v_pk_add_f16 v15, v33, v26 neg_lo:[0,1] neg_hi:[0,1]
	v_pk_add_f16 v26, v33, v26
	v_pk_add_f16 v31, v24, v31
	v_sub_f16_e32 v39, v25, v28
	v_bfi_b32 v28, s0, v15, v26
	v_lshrrev_b32_e32 v26, 16, v26
	v_fma_f16 v32, v24, 2.0, -v31
	v_fma_f16 v26, v34, 2.0, -v26
	s_mov_b32 s2, 0xb9a8
	v_fma_f16 v15, v33, 2.0, -v15
	s_movk_i32 s1, 0x39a8
	v_mul_f16_e32 v40, 0x39a8, v26
	v_fma_f16 v26, v26, s2, v32
	v_pk_add_f16 v20, v10, v20 neg_lo:[0,1] neg_hi:[0,1]
	v_lshrrev_b32_e32 v29, 16, v3
	v_mul_f16_e32 v42, 0x39a8, v15
	v_fma_f16 v15, v15, s1, v26
	s_waitcnt vmcnt(0)
	v_pk_add_f16 v21, v3, v21 op_sel:[1,1] op_sel_hi:[0,0] neg_lo:[0,1] neg_hi:[0,1]
	v_lshrrev_b32_e32 v33, 16, v10
	v_lshrrev_b32_e32 v34, 16, v20
	v_pk_add_f16 v19, v2, v19 op_sel:[1,1] op_sel_hi:[0,0] neg_lo:[0,1] neg_hi:[0,1]
	v_pk_add_f16 v17, v11, v17 neg_lo:[0,1] neg_hi:[0,1]
	v_lshrrev_b32_e32 v30, 16, v2
	v_fma_f16 v26, v32, 2.0, -v15
	v_lshrrev_b32_e32 v32, 16, v21
	v_fma_f16 v29, v29, 2.0, -v21
	v_fma_f16 v33, v33, 2.0, -v34
	v_lshrrev_b32_e32 v34, 16, v19
	v_lshrrev_b32_e32 v35, 16, v11
	;; [unrolled: 1-line block ×3, first 2 shown]
	v_fma_f16 v3, v3, 2.0, -v32
	v_fma_f16 v10, v10, 2.0, -v20
	;; [unrolled: 1-line block ×6, first 2 shown]
	v_sub_f16_e32 v33, v29, v33
	v_sub_f16_e32 v10, v3, v10
	v_fma_f16 v43, v29, 2.0, -v33
	v_pk_add_f16 v29, v21, v20 neg_lo:[0,1] neg_hi:[0,1]
	v_pk_add_f16 v20, v21, v20
	v_sub_f16_e32 v11, v2, v11
	v_sub_f16_e32 v35, v30, v35
	v_pk_add_f16 v37, v19, v17 neg_lo:[0,1] neg_hi:[0,1]
	v_pk_add_f16 v17, v19, v17
	v_fma_f16 v3, v3, 2.0, -v10
	v_bfi_b32 v36, s0, v29, v20
	v_lshrrev_b32_e32 v20, 16, v20
	v_fma_f16 v21, v21, 2.0, -v29
	v_fma_f16 v2, v2, 2.0, -v11
	;; [unrolled: 1-line block ×3, first 2 shown]
	v_bfi_b32 v47, s0, v37, v17
	v_lshrrev_b32_e32 v17, 16, v17
	v_fma_f16 v19, v19, 2.0, -v37
	v_fma_f16 v32, v32, 2.0, -v20
	;; [unrolled: 1-line block ×3, first 2 shown]
	v_sub_f16_e32 v44, v3, v2
	v_sub_f16_e32 v49, v43, v30
	v_fma_f16 v30, v19, s2, v21
	v_fma_f16 v2, v3, 2.0, -v44
	v_fma_f16 v3, v17, s2, v32
	v_fma_f16 v46, v17, s2, v30
	v_sub_f16_e32 v22, v16, v22
	v_pk_mul_f16 v41, v28, s1 op_sel_hi:[1,0]
	v_fma_f16 v45, v19, s1, v3
	v_fma_f16 v52, v21, 2.0, -v46
	v_pk_mul_f16 v19, v47, s1 op_sel_hi:[1,0]
	v_pk_fma_f16 v21, v47, s1, v36 op_sel_hi:[1,0,1]
	v_fma_f16 v27, v14, 2.0, -v24
	v_fma_f16 v16, v16, 2.0, -v22
	v_alignbit_b32 v28, s0, v41, 16
	v_pk_add_f16 v47, v21, v19 op_sel:[0,1] op_sel_hi:[1,0] neg_lo:[0,1] neg_hi:[0,1]
	v_pk_add_f16 v19, v21, v19 op_sel:[0,1] op_sel_hi:[1,0]
	v_sub_f16_e32 v16, v27, v16
	v_pk_add_f16 v28, v31, v28
	v_add_f16_e32 v3, v10, v35
	v_sub_f16_e32 v11, v33, v11
	v_bfi_b32 v21, s0, v47, v19
	s_mov_b32 s3, 0x3b64361f
	v_fma_f16 v10, v10, 2.0, -v3
	v_fma_f16 v17, v33, 2.0, -v11
	v_mul_f16_e32 v55, 0x39a8, v3
	v_mul_f16_e32 v56, 0x39a8, v11
	v_pk_mul_f16 v3, v21, s3
	v_pack_b32_f16 v11, v16, v41
	v_pack_b32_f16 v21, v39, v28
	v_fma_f16 v27, v27, 2.0, -v16
	v_fma_f16 v13, v13, 2.0, -v38
	v_pk_add_f16 v11, v11, v21
	v_sub_f16_e32 v13, v27, v13
	v_lshrrev_b32_e32 v48, 16, v19
	v_fma_f16 v16, v16, 2.0, -v11
	v_lshrrev_b32_e32 v21, 16, v11
	v_fma_f16 v27, v27, 2.0, -v13
	v_fma_f16 v50, v32, 2.0, -v45
	;; [unrolled: 1-line block ×3, first 2 shown]
	s_mov_b32 s6, 0xbb64
	s_movk_i32 s7, 0x361f
	v_mul_f16_e32 v57, 0x39a8, v10
	v_fma_f16 v21, v31, 2.0, -v21
	v_fma_f16 v10, v10, s2, v16
	s_mov_b32 s11, 0xb61f
	v_fma_f16 v54, v29, 2.0, -v47
	v_sub_f16_e32 v2, v27, v2
	v_fma_f16 v20, v50, s6, v26
	v_mul_f16_e32 v58, 0x39a8, v17
	v_fma_f16 v29, v45, s7, v15
	s_movk_i32 s10, 0x3b64
	v_fma_f16 v10, v17, s1, v10
	v_fma_f16 v17, v53, s11, v21
	v_bfi_b32 v28, s0, v55, v3
	v_fma_f16 v19, v27, 2.0, -v2
	v_fma_f16 v20, v52, s7, v20
	v_add_f16_e32 v27, v13, v49
	v_fma_f16 v29, v46, s10, v29
	v_fma_f16 v17, v54, s10, v17
	v_pk_add_f16 v28, v11, v28
	v_pack_b32_f16 v3, v56, v3
	v_fma_f16 v13, v13, 2.0, -v27
	v_fma_f16 v15, v15, 2.0, -v29
	v_lshl_add_u32 v51, v5, 5, 0
	v_fma_f16 v16, v16, 2.0, -v10
	v_pk_add_f16 v3, v3, v28
	v_pack_b32_f16 v10, v10, v17
	v_pack_b32_f16 v2, v2, v20
	v_fma_f16 v26, v26, 2.0, -v20
	v_fma_f16 v21, v21, 2.0, -v17
	v_pk_fma_f16 v11, v11, 2.0, v3 op_sel_hi:[1,0,1] neg_lo:[0,0,1] neg_hi:[0,0,1]
	v_pack_b32_f16 v13, v13, v15
	ds_write2_b32 v51, v2, v10 offset0:4 offset1:5
	v_pack_b32_f16 v2, v27, v29
	s_movk_i32 s0, 0xffe2
	v_pack_b32_f16 v19, v19, v26
	v_pack_b32_f16 v16, v16, v21
	ds_write2_b32 v51, v13, v11 offset0:2 offset1:3
	ds_write2_b32 v51, v2, v3 offset0:6 offset1:7
	v_mad_i32_i24 v2, v5, s0, v51
	v_lshl_add_u32 v13, v6, 1, 0
	ds_write2_b32 v51, v19, v16 offset1:1
	v_lshrrev_b32_e32 v15, 16, v3
	s_waitcnt lgkmcnt(0)
	; wave barrier
	s_waitcnt lgkmcnt(0)
	v_lshl_add_u32 v3, v7, 1, 0
	ds_read_u16 v29, v2 offset:512
	ds_read_u16 v27, v2 offset:608
	;; [unrolled: 1-line block ×3, first 2 shown]
	v_lshl_add_u32 v10, v8, 1, 0
	ds_read_u16 v20, v13
	ds_read_u16 v19, v3
	;; [unrolled: 1-line block ×3, first 2 shown]
	ds_read_u16 v28, v2 offset:800
	v_lshl_add_u32 v11, v9, 1, 0
	ds_read_u16 v21, v2
	ds_read_u16 v16, v11
	ds_read_u16 v34, v2 offset:1120
	ds_read_u16 v33, v2 offset:1216
	;; [unrolled: 1-line block ×6, first 2 shown]
	v_mul_i32_i24_e32 v2, 0xffffffe2, v5
	v_cmp_gt_u32_e64 s[0:1], 16, v5
	v_add_u32_e32 v2, v51, v2
	v_lshl_add_u32 v12, v12, 1, 0
                                        ; implicit-def: $vgpr35
                                        ; implicit-def: $vgpr36
	s_and_saveexec_b64 s[2:3], s[0:1]
	s_cbranch_execz .LBB0_15
; %bb.14:
	ds_read_u16 v36, v2 offset:992
	ds_read_u16 v15, v12
	ds_read_u16 v35, v2 offset:1504
.LBB0_15:
	s_or_b64 exec, exec, s[2:3]
	v_lshrrev_b32_e32 v14, 16, v14
	v_sub_f16_e32 v18, v14, v18
	v_lshrrev_b32_e32 v23, 16, v23
	v_lshrrev_b32_e32 v24, 16, v24
	v_fma_f16 v14, v14, 2.0, -v18
	v_fma_f16 v23, v23, 2.0, -v24
	v_sub_f16_e32 v23, v14, v23
	v_sub_f16_e32 v22, v18, v22
	v_fma_f16 v14, v14, 2.0, -v23
	v_fma_f16 v18, v18, 2.0, -v22
	;; [unrolled: 1-line block ×3, first 2 shown]
	v_sub_f16_e32 v24, v14, v24
	v_sub_f16_e32 v25, v18, v42
	v_fma_f16 v14, v14, 2.0, -v24
	v_sub_f16_e32 v25, v25, v40
	v_fma_f16 v40, v43, 2.0, -v49
	v_fma_f16 v18, v18, 2.0, -v25
	v_sub_f16_e32 v38, v23, v38
	v_add_f16_e32 v39, v22, v41
	v_sub_f16_e32 v40, v14, v40
	v_fma_f16 v23, v23, 2.0, -v38
	v_sub_f16_sdwa v39, v39, v41 dst_sel:DWORD dst_unused:UNUSED_PAD src0_sel:DWORD src1_sel:WORD_1
	v_fma_f16 v41, v14, 2.0, -v40
	v_fma_f16 v14, v52, s6, v18
	v_fma_f16 v22, v22, 2.0, -v39
	v_fma_f16 v42, v50, s11, v14
	v_sub_f16_e32 v14, v23, v58
	v_sub_f16_e32 v43, v14, v57
	v_fma_f16 v14, v54, s11, v22
	v_fma_f16 v49, v53, s6, v14
	;; [unrolled: 1-line block ×4, first 2 shown]
	v_add_f16_e32 v14, v38, v56
	v_sub_f16_e32 v46, v14, v55
	v_fma_f16 v14, v47, s10, v39
	v_fma_f16 v18, v18, 2.0, -v42
	v_fma_f16 v23, v23, 2.0, -v43
	;; [unrolled: 1-line block ×3, first 2 shown]
	v_sub_f16_e32 v44, v24, v44
	v_fma_f16 v14, v48, s11, v14
	v_fma_f16 v24, v24, 2.0, -v44
	v_fma_f16 v25, v25, 2.0, -v45
	;; [unrolled: 1-line block ×4, first 2 shown]
	v_pack_b32_f16 v22, v23, v22
	v_pack_b32_f16 v18, v41, v18
	s_waitcnt lgkmcnt(0)
	; wave barrier
	s_waitcnt lgkmcnt(0)
	ds_write2_b32 v51, v18, v22 offset1:1
	v_pack_b32_f16 v18, v38, v39
	v_pack_b32_f16 v22, v24, v25
	ds_write2_b32 v51, v22, v18 offset0:2 offset1:3
	v_pack_b32_f16 v18, v43, v49
	v_pack_b32_f16 v22, v40, v42
	ds_write2_b32 v51, v22, v18 offset0:4 offset1:5
	;; [unrolled: 3-line block ×3, first 2 shown]
	s_waitcnt lgkmcnt(0)
	; wave barrier
	s_waitcnt lgkmcnt(0)
	ds_read_u16 v40, v2 offset:512
	ds_read_u16 v38, v2 offset:608
	;; [unrolled: 1-line block ×3, first 2 shown]
	ds_read_u16 v24, v13
	ds_read_u16 v23, v3
	;; [unrolled: 1-line block ×3, first 2 shown]
	ds_read_u16 v41, v2 offset:800
	ds_read_u16 v25, v2
	ds_read_u16 v18, v11
	ds_read_u16 v43, v2 offset:1120
	ds_read_u16 v45, v2 offset:1216
	;; [unrolled: 1-line block ×6, first 2 shown]
                                        ; implicit-def: $vgpr54
                                        ; implicit-def: $vgpr56
	s_and_saveexec_b64 s[2:3], s[0:1]
	s_cbranch_execz .LBB0_17
; %bb.16:
	ds_read_u16 v56, v2 offset:992
	ds_read_u16 v14, v12
	ds_read_u16 v54, v2 offset:1504
.LBB0_17:
	s_or_b64 exec, exec, s[2:3]
	v_and_b32_e32 v57, 15, v5
	v_lshlrev_b32_e32 v44, 3, v57
	global_load_dwordx2 v[58:59], v44, s[4:5]
	v_lshlrev_b32_e32 v44, 3, v5
	v_and_b32_e32 v44, 0x78, v44
	global_load_dwordx2 v[60:61], v44, s[4:5]
	v_lshrrev_b32_e32 v6, 4, v6
	s_mov_b32 s6, 0xbaee
	s_movk_i32 s7, 0x3aee
	v_mul_lo_u32 v6, v6, 48
	v_or_b32_e32 v6, v6, v57
	s_waitcnt lgkmcnt(0)
	; wave barrier
	s_waitcnt vmcnt(1) lgkmcnt(0)
	v_mul_f16_sdwa v44, v40, v58 dst_sel:DWORD dst_unused:UNUSED_PAD src0_sel:DWORD src1_sel:WORD_1
	v_mul_f16_sdwa v48, v29, v58 dst_sel:DWORD dst_unused:UNUSED_PAD src0_sel:DWORD src1_sel:WORD_1
	;; [unrolled: 1-line block ×17, first 2 shown]
	s_waitcnt vmcnt(0)
	v_mul_f16_sdwa v80, v54, v61 dst_sel:DWORD dst_unused:UNUSED_PAD src0_sel:DWORD src1_sel:WORD_1
	v_fma_f16 v47, v29, v58, v44
	v_fma_f16 v52, v40, v58, -v48
	v_fma_f16 v48, v38, v58, -v63
	v_fma_f16 v44, v34, v59, v64
	v_fma_f16 v38, v26, v58, v66
	;; [unrolled: 1-line block ×5, first 2 shown]
	v_mul_f16_sdwa v51, v37, v59 dst_sel:DWORD dst_unused:UNUSED_PAD src0_sel:DWORD src1_sel:WORD_1
	v_mul_f16_sdwa v69, v33, v59 dst_sel:DWORD dst_unused:UNUSED_PAD src0_sel:DWORD src1_sel:WORD_1
	;; [unrolled: 1-line block ×5, first 2 shown]
	v_fma_f16 v50, v37, v59, v50
	v_fma_f16 v40, v33, v59, v68
	;; [unrolled: 1-line block ×3, first 2 shown]
	v_fma_f16 v32, v53, v58, -v75
	v_fma_f16 v37, v46, v59, -v77
	v_fma_f16 v28, v35, v61, v80
	v_add_f16_e32 v35, v21, v47
	v_add_f16_e32 v64, v26, v31
	v_mul_f16_sdwa v79, v36, v60 dst_sel:DWORD dst_unused:UNUSED_PAD src0_sel:DWORD src1_sel:WORD_1
	v_fma_f16 v55, v42, v59, -v51
	v_fma_f16 v42, v27, v58, v62
	v_fma_f16 v51, v43, v59, -v65
	v_fma_f16 v27, v36, v60, v78
	v_fma_f16 v30, v54, v61, -v81
	v_add_f16_e32 v36, v47, v50
	v_add_f16_e32 v61, v33, v34
	;; [unrolled: 1-line block ×4, first 2 shown]
	v_fma_f16 v16, v64, -0.5, v16
	v_sub_f16_e32 v35, v32, v37
	v_fma_f16 v43, v39, v58, -v67
	v_fma_f16 v39, v41, v58, -v71
	;; [unrolled: 1-line block ×4, first 2 shown]
	v_sub_f16_e32 v46, v52, v55
	v_add_f16_e32 v49, v20, v42
	v_add_f16_e32 v60, v17, v33
	v_fma_f16 v21, v36, -0.5, v21
	v_fma_f16 v17, v61, -0.5, v17
	v_fma_f16 v61, v35, s6, v16
	v_fma_f16 v16, v35, s7, v16
	v_lshrrev_b32_e32 v35, 4, v5
	v_add_f16_e32 v36, v49, v44
	v_fma_f16 v49, v46, s6, v21
	v_fma_f16 v21, v46, s7, v21
	v_mul_u32_u24_e32 v35, 48, v35
	v_lshl_add_u32 v46, v6, 1, 0
	v_lshrrev_b32_e32 v6, 4, v7
	v_or_b32_e32 v35, v35, v57
	v_mul_lo_u32 v6, v6, 48
	v_lshl_add_u32 v35, v35, 1, 0
	v_or_b32_e32 v6, v6, v57
	ds_write_b16 v35, v65
	ds_write_b16 v35, v49 offset:32
	ds_write_b16 v35, v21 offset:64
	v_lshl_add_u32 v49, v6, 1, 0
	v_lshrrev_b32_e32 v6, 4, v8
	v_fma_f16 v45, v45, v59, -v69
	v_add_f16_e32 v53, v42, v44
	v_add_f16_e32 v56, v19, v38
	;; [unrolled: 1-line block ×3, first 2 shown]
	v_mul_lo_u32 v6, v6, 48
	v_sub_f16_e32 v54, v48, v51
	v_sub_f16_e32 v59, v43, v45
	v_fma_f16 v20, v53, -0.5, v20
	v_add_f16_e32 v53, v56, v40
	v_fma_f16 v19, v58, -0.5, v19
	v_or_b32_e32 v6, v6, v57
	v_add_f16_e32 v56, v60, v34
	v_fma_f16 v60, v54, s6, v20
	v_fma_f16 v20, v54, s7, v20
	;; [unrolled: 1-line block ×4, first 2 shown]
	ds_write_b16 v46, v36
	ds_write_b16 v46, v60 offset:32
	ds_write_b16 v46, v20 offset:64
	ds_write_b16 v49, v53
	ds_write_b16 v49, v54 offset:32
	ds_write_b16 v49, v19 offset:64
	v_lshl_add_u32 v53, v6, 1, 0
	v_lshrrev_b32_e32 v6, 4, v9
	v_mul_lo_u32 v6, v6, 48
	v_or_b32_e32 v6, v6, v57
	v_sub_f16_e32 v62, v39, v41
	v_add_f16_e32 v58, v63, v31
	v_lshl_add_u32 v54, v6, 1, 0
	v_lshl_add_u32 v36, v5, 1, 0
	v_fma_f16 v59, v62, s6, v17
	v_fma_f16 v17, v62, s7, v17
	ds_write_b16 v53, v56
	ds_write_b16 v53, v59 offset:32
	ds_write_b16 v53, v17 offset:64
	ds_write_b16 v54, v58
	ds_write_b16 v54, v61 offset:32
	ds_write_b16 v54, v16 offset:64
	s_and_saveexec_b64 s[2:3], s[0:1]
	s_cbranch_execz .LBB0_19
; %bb.18:
	v_add_f16_e32 v6, v27, v28
	v_fma_f16 v6, v6, -0.5, v15
	v_sub_f16_e32 v7, v29, v30
	v_fma_f16 v8, v7, s7, v6
	v_fma_f16 v6, v7, s6, v6
	v_add_f16_e32 v7, v15, v27
	v_add_f16_e32 v7, v7, v28
	ds_write_b16 v36, v7 offset:1440
	ds_write_b16 v36, v6 offset:1472
	;; [unrolled: 1-line block ×3, first 2 shown]
.LBB0_19:
	s_or_b64 exec, exec, s[2:3]
	v_add_f16_e32 v6, v25, v52
	v_add_f16_e32 v56, v6, v55
	v_add_f16_e32 v6, v52, v55
	v_fma_f16 v6, v6, -0.5, v25
	v_sub_f16_e32 v7, v47, v50
	v_fma_f16 v47, v7, s7, v6
	v_fma_f16 v50, v7, s6, v6
	v_add_f16_e32 v6, v24, v48
	v_add_f16_e32 v52, v6, v51
	v_add_f16_e32 v6, v48, v51
	v_fma_f16 v6, v6, -0.5, v24
	v_sub_f16_e32 v7, v42, v44
	v_fma_f16 v42, v7, s7, v6
	v_fma_f16 v44, v7, s6, v6
	;; [unrolled: 7-line block ×5, first 2 shown]
	s_waitcnt lgkmcnt(0)
	; wave barrier
	s_waitcnt lgkmcnt(0)
	ds_read_u16 v15, v13
	ds_read_u16 v20, v3
	;; [unrolled: 1-line block ×3, first 2 shown]
	ds_read_u16 v19, v2 offset:576
	ds_read_u16 v24, v2 offset:672
	;; [unrolled: 1-line block ×3, first 2 shown]
	ds_read_u16 v6, v2
	ds_read_u16 v7, v11
	ds_read_u16 v16, v2 offset:864
	ds_read_u16 v21, v2 offset:960
	;; [unrolled: 1-line block ×6, first 2 shown]
	ds_read_u16 v18, v12
	ds_read_u16 v26, v2 offset:1440
	s_waitcnt lgkmcnt(0)
	; wave barrier
	s_waitcnt lgkmcnt(0)
	ds_write_b16 v35, v56
	ds_write_b16 v35, v47 offset:32
	ds_write_b16 v35, v50 offset:64
	ds_write_b16 v46, v52
	ds_write_b16 v46, v42 offset:32
	ds_write_b16 v46, v44 offset:64
	;; [unrolled: 3-line block ×5, first 2 shown]
	s_and_saveexec_b64 s[2:3], s[0:1]
	s_cbranch_execz .LBB0_21
; %bb.20:
	v_add_f16_e32 v31, v14, v29
	v_add_f16_e32 v29, v29, v30
	v_fma_f16 v14, v29, -0.5, v14
	v_sub_f16_e32 v27, v27, v28
	s_movk_i32 s0, 0x3aee
	v_add_f16_e32 v31, v31, v30
	v_fma_f16 v28, v27, s0, v14
	s_mov_b32 s0, 0xbaee
	v_fma_f16 v14, v27, s0, v14
	ds_write_b16 v36, v31 offset:1440
	ds_write_b16 v36, v28 offset:1472
	ds_write_b16 v36, v14 offset:1504
.LBB0_21:
	s_or_b64 exec, exec, s[2:3]
	s_waitcnt lgkmcnt(0)
	; wave barrier
	s_waitcnt lgkmcnt(0)
	s_and_saveexec_b64 s[0:1], vcc
	s_cbranch_execz .LBB0_23
; %bb.22:
	v_mul_u32_u24_e32 v5, 15, v5
	v_lshlrev_b32_e32 v5, 2, v5
	global_load_dwordx4 v[28:31], v5, s[4:5] offset:128
	global_load_dwordx4 v[32:35], v5, s[4:5] offset:160
	;; [unrolled: 1-line block ×3, first 2 shown]
	global_load_dwordx3 v[40:42], v5, s[4:5] offset:176
	ds_read_u16 v5, v13
	ds_read_u16 v13, v2 offset:1248
	ds_read_u16 v11, v11
	ds_read_u16 v10, v10
	;; [unrolled: 1-line block ×4, first 2 shown]
	ds_read_u16 v14, v2 offset:1440
	ds_read_u16 v27, v2 offset:1344
	;; [unrolled: 1-line block ×9, first 2 shown]
	ds_read_u16 v2, v2
	s_movk_i32 s1, 0x39a8
	s_mov_b32 s0, 0xb9a8
	s_movk_i32 s3, 0x3b64
	s_movk_i32 s2, 0x361f
	s_mov_b32 s5, 0xb61f
	s_mov_b32 s4, 0xbb64
	s_waitcnt vmcnt(3)
	v_mul_f16_sdwa v50, v15, v28 dst_sel:DWORD dst_unused:UNUSED_PAD src0_sel:DWORD src1_sel:WORD_1
	v_mul_f16_sdwa v61, v23, v30 dst_sel:DWORD dst_unused:UNUSED_PAD src0_sel:DWORD src1_sel:WORD_1
	s_waitcnt vmcnt(2)
	v_mul_f16_sdwa v62, v25, v34 dst_sel:DWORD dst_unused:UNUSED_PAD src0_sel:DWORD src1_sel:WORD_1
	s_waitcnt vmcnt(0)
	v_lshrrev_b32_e32 v59, 16, v42
	v_mul_f16_e32 v64, v26, v42
	s_waitcnt lgkmcnt(12)
	v_mul_f16_sdwa v65, v10, v30 dst_sel:DWORD dst_unused:UNUSED_PAD src0_sel:DWORD src1_sel:WORD_1
	v_mul_f16_sdwa v67, v20, v29 dst_sel:DWORD dst_unused:UNUSED_PAD src0_sel:DWORD src1_sel:WORD_1
	;; [unrolled: 1-line block ×3, first 2 shown]
	v_fma_f16 v50, v5, v28, -v50
	v_mul_f16_sdwa v5, v5, v28 dst_sel:DWORD dst_unused:UNUSED_PAD src0_sel:DWORD src1_sel:WORD_1
	v_lshrrev_b32_e32 v52, 16, v36
	v_lshrrev_b32_e32 v53, 16, v37
	;; [unrolled: 1-line block ×4, first 2 shown]
	s_waitcnt lgkmcnt(6)
	v_mul_f16_sdwa v66, v44, v34 dst_sel:DWORD dst_unused:UNUSED_PAD src0_sel:DWORD src1_sel:WORD_1
	v_fma_f16 v10, v10, v30, -v61
	v_fma_f16 v44, v44, v34, -v62
	v_fma_f16 v62, v14, v59, v64
	v_fma_f16 v23, v23, v30, v65
	v_fma_f16 v30, v3, v29, -v67
	v_fma_f16 v64, v11, v31, -v72
	v_mul_f16_sdwa v3, v3, v29 dst_sel:DWORD dst_unused:UNUSED_PAD src0_sel:DWORD src1_sel:WORD_1
	v_fma_f16 v5, v15, v28, v5
	s_waitcnt lgkmcnt(4)
	v_mul_f16_sdwa v15, v46, v32 dst_sel:DWORD dst_unused:UNUSED_PAD src0_sel:DWORD src1_sel:WORD_1
	v_mul_f16_sdwa v11, v11, v31 dst_sel:DWORD dst_unused:UNUSED_PAD src0_sel:DWORD src1_sel:WORD_1
	;; [unrolled: 1-line block ×3, first 2 shown]
	v_mul_f16_e32 v56, v18, v36
	v_lshrrev_b32_e32 v57, 16, v40
	v_mul_f16_e32 v69, v19, v37
	v_mul_f16_e32 v70, v22, v41
	;; [unrolled: 1-line block ×3, first 2 shown]
	v_fma_f16 v3, v20, v29, v3
	v_mul_f16_sdwa v29, v45, v33 dst_sel:DWORD dst_unused:UNUSED_PAD src0_sel:DWORD src1_sel:WORD_1
	v_mul_f16_e32 v19, v19, v53
	v_mul_f16_e32 v22, v22, v58
	v_fma_f16 v15, v16, v32, v15
	v_mul_f16_e32 v16, v18, v52
	v_mul_f16_e32 v8, v8, v55
	v_fma_f16 v7, v7, v31, v11
	v_mul_f16_sdwa v11, v43, v35 dst_sel:DWORD dst_unused:UNUSED_PAD src0_sel:DWORD src1_sel:WORD_1
	v_lshrrev_b32_e32 v54, 16, v38
	v_mul_f16_e32 v60, v17, v40
	v_mul_f16_e32 v63, v24, v38
	v_mul_f16_sdwa v68, v21, v33 dst_sel:DWORD dst_unused:UNUSED_PAD src0_sel:DWORD src1_sel:WORD_1
	v_mul_f16_sdwa v73, v9, v35 dst_sel:DWORD dst_unused:UNUSED_PAD src0_sel:DWORD src1_sel:WORD_1
	v_fma_f16 v56, v12, v52, v56
	v_fma_f16 v21, v21, v33, v29
	s_waitcnt lgkmcnt(1)
	v_fma_f16 v19, v49, v37, -v19
	v_fma_f16 v22, v27, v41, -v22
	;; [unrolled: 1-line block ×3, first 2 shown]
	v_mul_f16_e32 v16, v17, v57
	v_fma_f16 v8, v47, v39, -v8
	v_fma_f16 v9, v9, v35, v11
	v_fma_f16 v51, v46, v32, -v51
	v_fma_f16 v60, v13, v57, v60
	v_fma_f16 v61, v48, v54, v63
	;; [unrolled: 1-line block ×3, first 2 shown]
	v_mul_f16_e32 v24, v24, v54
	v_mul_f16_e32 v26, v26, v59
	v_fma_f16 v34, v45, v33, -v68
	v_fma_f16 v54, v49, v53, v69
	v_fma_f16 v59, v27, v58, v70
	v_fma_f16 v65, v43, v35, -v73
	v_sub_f16_e32 v21, v3, v21
	v_sub_f16_e32 v22, v19, v22
	v_fma_f16 v13, v13, v40, -v16
	s_waitcnt lgkmcnt(0)
	v_sub_f16_e32 v8, v2, v8
	v_sub_f16_e32 v9, v7, v9
	v_fma_f16 v63, v47, v55, v71
	v_sub_f16_e32 v51, v50, v51
	v_sub_f16_e32 v62, v61, v62
	;; [unrolled: 1-line block ×3, first 2 shown]
	v_fma_f16 v24, v48, v38, -v24
	v_fma_f16 v14, v14, v42, -v26
	v_sub_f16_e32 v26, v30, v34
	v_sub_f16_e32 v34, v54, v59
	v_sub_f16_e32 v42, v64, v65
	v_add_f16_e32 v27, v21, v22
	v_sub_f16_e32 v15, v5, v15
	v_sub_f16_e32 v13, v12, v13
	;; [unrolled: 1-line block ×7, first 2 shown]
	v_fma_f16 v29, v21, 2.0, -v27
	v_add_f16_e32 v16, v15, v13
	v_fma_f16 v31, v8, 2.0, -v11
	v_fma_f16 v45, v50, 2.0, -v51
	;; [unrolled: 1-line block ×9, first 2 shown]
	v_add_f16_e32 v68, v25, v14
	v_fma_f16 v17, v15, 2.0, -v16
	v_sub_f16_e32 v12, v45, v12
	v_sub_f16_e32 v23, v13, v23
	v_fma_f16 v6, v6, 2.0, -v38
	v_fma_f16 v7, v7, 2.0, -v9
	;; [unrolled: 1-line block ×8, first 2 shown]
	v_sub_f16_e32 v8, v2, v8
	v_sub_f16_e32 v21, v3, v21
	v_add_f16_e32 v65, v38, v42
	v_fma_f16 v71, v25, 2.0, -v68
	v_sub_f16_e32 v25, v12, v23
	v_sub_f16_e32 v7, v6, v7
	;; [unrolled: 1-line block ×9, first 2 shown]
	v_fma_f16 v35, v27, s1, v65
	v_fma_f16 v37, v68, s1, v16
	v_add_f16_e32 v22, v19, v7
	v_add_f16_e32 v24, v15, v14
	v_fma_f16 v34, v25, s1, v30
	v_fma_f16 v67, v44, 2.0, -v59
	v_fma_f16 v69, v26, 2.0, -v63
	v_fma_f16 v35, v63, s1, v35
	v_fma_f16 v36, v59, s1, v48
	;; [unrolled: 1-line block ×6, first 2 shown]
	v_fma_f16 v44, v7, 2.0, -v22
	v_fma_f16 v24, v15, 2.0, -v24
	;; [unrolled: 1-line block ×4, first 2 shown]
	v_fma_f16 v36, v68, s0, v36
	v_fma_f16 v39, v37, s3, v35
	;; [unrolled: 1-line block ×4, first 2 shown]
	v_fma_f16 v25, v12, 2.0, -v25
	v_fma_f16 v46, v24, s0, v44
	v_fma_f16 v47, v8, 2.0, -v30
	v_fma_f16 v70, v67, s0, v66
	v_fma_f16 v33, v29, s0, v20
	;; [unrolled: 1-line block ×12, first 2 shown]
	v_fma_f16 v40, v35, 2.0, -v39
	v_fma_f16 v41, v37, s5, v41
	v_fma_f16 v24, v24, s0, v25
	v_fma_f16 v25, v65, 2.0, -v35
	v_fma_f16 v35, v48, 2.0, -v36
	;; [unrolled: 1-line block ×7, first 2 shown]
	v_fma_f16 v32, v70, s2, v29
	v_fma_f16 v43, v27, 2.0, -v41
	v_fma_f16 v16, v16, 2.0, -v37
	v_fma_f16 v27, v35, s5, v11
	v_sub_f16_e32 v3, v6, v3
	v_sub_f16_e32 v10, v7, v10
	v_fma_f16 v2, v2, 2.0, -v8
	v_fma_f16 v8, v9, 2.0, -v19
	;; [unrolled: 1-line block ×6, first 2 shown]
	v_fma_f16 v28, v18, s2, v33
	v_fma_f16 v32, v18, s4, v32
	;; [unrolled: 1-line block ×4, first 2 shown]
	v_add_f16_e32 v12, v10, v3
	v_sub_f16_e32 v8, v2, v8
	v_sub_f16_e32 v9, v5, v9
	v_fma_f16 v23, v66, 2.0, -v70
	v_fma_f16 v18, v17, s4, v20
	v_fma_f16 v27, v31, 2.0, -v29
	v_sub_f16_e32 v13, v8, v9
	v_fma_f16 v19, v3, 2.0, -v12
	v_fma_f16 v18, v23, s2, v18
	v_fma_f16 v23, v23, s4, v27
	v_fma_f16 v3, v6, 2.0, -v3
	v_fma_f16 v5, v5, 2.0, -v9
	;; [unrolled: 1-line block ×5, first 2 shown]
	v_fma_f16 v17, v17, s5, v23
	v_sub_f16_e32 v5, v3, v5
	v_sub_f16_e32 v8, v2, v6
	v_fma_f16 v23, v27, 2.0, -v17
	v_fma_f16 v9, v22, 2.0, -v26
	;; [unrolled: 1-line block ×4, first 2 shown]
	v_mad_u64_u32 v[2:3], s[0:1], s8, v4, 0
	v_mov_b32_e32 v6, v3
	v_mad_u64_u32 v[6:7], s[0:1], s9, v4, v[6:7]
	v_mov_b32_e32 v3, v6
	v_lshl_add_u64 v[2:3], v[2:3], 2, v[0:1]
	v_pack_b32_f16 v6, v22, v27
	v_add_u32_e32 v7, 48, v4
	global_store_dword v[2:3], v6, off
	v_mad_u64_u32 v[2:3], s[0:1], s8, v7, 0
	v_mov_b32_e32 v6, v3
	v_mad_u64_u32 v[6:7], s[0:1], s9, v7, v[6:7]
	v_fma_f16 v20, v20, 2.0, -v18
	v_mov_b32_e32 v3, v6
	v_lshl_add_u64 v[2:3], v[2:3], 2, v[0:1]
	v_pack_b32_f16 v6, v20, v23
	v_add_u32_e32 v7, 0x60, v4
	global_store_dword v[2:3], v6, off
	v_mad_u64_u32 v[2:3], s[0:1], s8, v7, 0
	v_mov_b32_e32 v6, v3
	v_mad_u64_u32 v[6:7], s[0:1], s9, v7, v[6:7]
	v_fma_f16 v14, v44, 2.0, -v46
	v_fma_f16 v15, v47, 2.0, -v24
	v_mov_b32_e32 v3, v6
	v_lshl_add_u64 v[2:3], v[2:3], 2, v[0:1]
	v_pack_b32_f16 v6, v14, v15
	v_add_u32_e32 v7, 0x90, v4
	global_store_dword v[2:3], v6, off
	v_mad_u64_u32 v[2:3], s[0:1], s8, v7, 0
	v_mov_b32_e32 v6, v3
	v_fma_f16 v36, v35, s3, v36
	v_mad_u64_u32 v[6:7], s[0:1], s9, v7, v[6:7]
	v_fma_f16 v25, v25, 2.0, -v36
	v_fma_f16 v11, v11, 2.0, -v16
	v_mov_b32_e32 v3, v6
	v_lshl_add_u64 v[2:3], v[2:3], 2, v[0:1]
	v_pack_b32_f16 v6, v25, v11
	v_or_b32_e32 v7, 0xc0, v4
	global_store_dword v[2:3], v6, off
	v_mad_u64_u32 v[2:3], s[0:1], s8, v7, 0
	v_mov_b32_e32 v6, v3
	v_mad_u64_u32 v[6:7], s[0:1], s9, v7, v[6:7]
	v_mov_b32_e32 v3, v6
	v_lshl_add_u64 v[2:3], v[2:3], 2, v[0:1]
	v_pack_b32_f16 v6, v19, v21
	v_add_u32_e32 v7, 0xf0, v4
	global_store_dword v[2:3], v6, off
	v_mad_u64_u32 v[2:3], s[0:1], s8, v7, 0
	v_mov_b32_e32 v6, v3
	v_fma_f16 v28, v70, s3, v28
	v_mad_u64_u32 v[6:7], s[0:1], s9, v7, v[6:7]
	v_fma_f16 v38, v33, 2.0, -v28
	v_fma_f16 v42, v29, 2.0, -v32
	v_mov_b32_e32 v3, v6
	v_lshl_add_u64 v[2:3], v[2:3], 2, v[0:1]
	v_pack_b32_f16 v6, v38, v42
	v_add_u32_e32 v7, 0x120, v4
	global_store_dword v[2:3], v6, off
	v_mad_u64_u32 v[2:3], s[0:1], s8, v7, 0
	v_mov_b32_e32 v6, v3
	v_mad_u64_u32 v[6:7], s[0:1], s9, v7, v[6:7]
	v_fma_f16 v10, v30, 2.0, -v34
	v_mov_b32_e32 v3, v6
	v_lshl_add_u64 v[2:3], v[2:3], 2, v[0:1]
	v_pack_b32_f16 v6, v9, v10
	v_add_u32_e32 v7, 0x150, v4
	global_store_dword v[2:3], v6, off
	v_mad_u64_u32 v[2:3], s[0:1], s8, v7, 0
	v_mov_b32_e32 v6, v3
	v_mad_u64_u32 v[6:7], s[0:1], s9, v7, v[6:7]
	v_mov_b32_e32 v3, v6
	v_lshl_add_u64 v[2:3], v[2:3], 2, v[0:1]
	v_pack_b32_f16 v6, v40, v43
	v_or_b32_e32 v7, 0x180, v4
	global_store_dword v[2:3], v6, off
	v_mad_u64_u32 v[2:3], s[0:1], s8, v7, 0
	v_mov_b32_e32 v6, v3
	v_mad_u64_u32 v[6:7], s[0:1], s9, v7, v[6:7]
	v_mov_b32_e32 v3, v6
	v_lshl_add_u64 v[2:3], v[2:3], 2, v[0:1]
	v_pack_b32_f16 v5, v5, v8
	global_store_dword v[2:3], v5, off
	v_add_u32_e32 v5, 0x1b0, v4
	v_mad_u64_u32 v[2:3], s[0:1], s8, v5, 0
	v_mov_b32_e32 v6, v3
	v_mad_u64_u32 v[6:7], s[0:1], s9, v5, v[6:7]
	v_mov_b32_e32 v3, v6
	v_lshl_add_u64 v[2:3], v[2:3], 2, v[0:1]
	v_pack_b32_f16 v5, v18, v17
	global_store_dword v[2:3], v5, off
	v_add_u32_e32 v5, 0x1e0, v4
	v_mad_u64_u32 v[2:3], s[0:1], s8, v5, 0
	v_mov_b32_e32 v6, v3
	v_mad_u64_u32 v[6:7], s[0:1], s9, v5, v[6:7]
	v_mov_b32_e32 v3, v6
	v_lshl_add_u64 v[2:3], v[2:3], 2, v[0:1]
	v_pack_b32_f16 v5, v46, v24
	global_store_dword v[2:3], v5, off
	v_add_u32_e32 v5, 0x210, v4
	v_mad_u64_u32 v[2:3], s[0:1], s8, v5, 0
	v_mov_b32_e32 v6, v3
	v_mad_u64_u32 v[6:7], s[0:1], s9, v5, v[6:7]
	v_mov_b32_e32 v3, v6
	v_lshl_add_u64 v[2:3], v[2:3], 2, v[0:1]
	v_pack_b32_f16 v5, v36, v16
	global_store_dword v[2:3], v5, off
	v_or_b32_e32 v5, 0x240, v4
	v_mad_u64_u32 v[2:3], s[0:1], s8, v5, 0
	v_mov_b32_e32 v6, v3
	v_mad_u64_u32 v[6:7], s[0:1], s9, v5, v[6:7]
	v_mov_b32_e32 v3, v6
	v_lshl_add_u64 v[2:3], v[2:3], 2, v[0:1]
	v_pack_b32_f16 v5, v12, v13
	global_store_dword v[2:3], v5, off
	v_add_u32_e32 v5, 0x270, v4
	v_mad_u64_u32 v[2:3], s[0:1], s8, v5, 0
	v_mov_b32_e32 v6, v3
	v_mad_u64_u32 v[6:7], s[0:1], s9, v5, v[6:7]
	v_mov_b32_e32 v3, v6
	v_lshl_add_u64 v[2:3], v[2:3], 2, v[0:1]
	v_pack_b32_f16 v5, v28, v32
	global_store_dword v[2:3], v5, off
	v_add_u32_e32 v5, 0x2a0, v4
	;; [unrolled: 8-line block ×3, first 2 shown]
	v_mad_u64_u32 v[2:3], s[0:1], s8, v5, 0
	v_mov_b32_e32 v4, v3
	v_mad_u64_u32 v[4:5], s[0:1], s9, v5, v[4:5]
	v_mov_b32_e32 v3, v4
	v_lshl_add_u64 v[0:1], v[2:3], 2, v[0:1]
	v_pack_b32_f16 v2, v39, v41
	global_store_dword v[0:1], v2, off
.LBB0_23:
	s_endpgm
	.section	.rodata,"a",@progbits
	.p2align	6, 0x0
	.amdhsa_kernel fft_rtc_back_len768_factors_16_3_16_wgs_48_tpt_48_halfLds_half_ip_CI_sbrr_dirReg
		.amdhsa_group_segment_fixed_size 0
		.amdhsa_private_segment_fixed_size 0
		.amdhsa_kernarg_size 88
		.amdhsa_user_sgpr_count 2
		.amdhsa_user_sgpr_dispatch_ptr 0
		.amdhsa_user_sgpr_queue_ptr 0
		.amdhsa_user_sgpr_kernarg_segment_ptr 1
		.amdhsa_user_sgpr_dispatch_id 0
		.amdhsa_user_sgpr_kernarg_preload_length 0
		.amdhsa_user_sgpr_kernarg_preload_offset 0
		.amdhsa_user_sgpr_private_segment_size 0
		.amdhsa_uses_dynamic_stack 0
		.amdhsa_enable_private_segment 0
		.amdhsa_system_sgpr_workgroup_id_x 1
		.amdhsa_system_sgpr_workgroup_id_y 0
		.amdhsa_system_sgpr_workgroup_id_z 0
		.amdhsa_system_sgpr_workgroup_info 0
		.amdhsa_system_vgpr_workitem_id 0
		.amdhsa_next_free_vgpr 82
		.amdhsa_next_free_sgpr 24
		.amdhsa_accum_offset 84
		.amdhsa_reserve_vcc 1
		.amdhsa_float_round_mode_32 0
		.amdhsa_float_round_mode_16_64 0
		.amdhsa_float_denorm_mode_32 3
		.amdhsa_float_denorm_mode_16_64 3
		.amdhsa_dx10_clamp 1
		.amdhsa_ieee_mode 1
		.amdhsa_fp16_overflow 0
		.amdhsa_tg_split 0
		.amdhsa_exception_fp_ieee_invalid_op 0
		.amdhsa_exception_fp_denorm_src 0
		.amdhsa_exception_fp_ieee_div_zero 0
		.amdhsa_exception_fp_ieee_overflow 0
		.amdhsa_exception_fp_ieee_underflow 0
		.amdhsa_exception_fp_ieee_inexact 0
		.amdhsa_exception_int_div_zero 0
	.end_amdhsa_kernel
	.text
.Lfunc_end0:
	.size	fft_rtc_back_len768_factors_16_3_16_wgs_48_tpt_48_halfLds_half_ip_CI_sbrr_dirReg, .Lfunc_end0-fft_rtc_back_len768_factors_16_3_16_wgs_48_tpt_48_halfLds_half_ip_CI_sbrr_dirReg
                                        ; -- End function
	.section	.AMDGPU.csdata,"",@progbits
; Kernel info:
; codeLenInByte = 8076
; NumSgprs: 30
; NumVgprs: 82
; NumAgprs: 0
; TotalNumVgprs: 82
; ScratchSize: 0
; MemoryBound: 0
; FloatMode: 240
; IeeeMode: 1
; LDSByteSize: 0 bytes/workgroup (compile time only)
; SGPRBlocks: 3
; VGPRBlocks: 10
; NumSGPRsForWavesPerEU: 30
; NumVGPRsForWavesPerEU: 82
; AccumOffset: 84
; Occupancy: 5
; WaveLimiterHint : 1
; COMPUTE_PGM_RSRC2:SCRATCH_EN: 0
; COMPUTE_PGM_RSRC2:USER_SGPR: 2
; COMPUTE_PGM_RSRC2:TRAP_HANDLER: 0
; COMPUTE_PGM_RSRC2:TGID_X_EN: 1
; COMPUTE_PGM_RSRC2:TGID_Y_EN: 0
; COMPUTE_PGM_RSRC2:TGID_Z_EN: 0
; COMPUTE_PGM_RSRC2:TIDIG_COMP_CNT: 0
; COMPUTE_PGM_RSRC3_GFX90A:ACCUM_OFFSET: 20
; COMPUTE_PGM_RSRC3_GFX90A:TG_SPLIT: 0
	.text
	.p2alignl 6, 3212836864
	.fill 256, 4, 3212836864
	.type	__hip_cuid_5362bfff45de9746,@object ; @__hip_cuid_5362bfff45de9746
	.section	.bss,"aw",@nobits
	.globl	__hip_cuid_5362bfff45de9746
__hip_cuid_5362bfff45de9746:
	.byte	0                               ; 0x0
	.size	__hip_cuid_5362bfff45de9746, 1

	.ident	"AMD clang version 19.0.0git (https://github.com/RadeonOpenCompute/llvm-project roc-6.4.0 25133 c7fe45cf4b819c5991fe208aaa96edf142730f1d)"
	.section	".note.GNU-stack","",@progbits
	.addrsig
	.addrsig_sym __hip_cuid_5362bfff45de9746
	.amdgpu_metadata
---
amdhsa.kernels:
  - .agpr_count:     0
    .args:
      - .actual_access:  read_only
        .address_space:  global
        .offset:         0
        .size:           8
        .value_kind:     global_buffer
      - .offset:         8
        .size:           8
        .value_kind:     by_value
      - .actual_access:  read_only
        .address_space:  global
        .offset:         16
        .size:           8
        .value_kind:     global_buffer
      - .actual_access:  read_only
        .address_space:  global
        .offset:         24
        .size:           8
        .value_kind:     global_buffer
      - .offset:         32
        .size:           8
        .value_kind:     by_value
      - .actual_access:  read_only
        .address_space:  global
        .offset:         40
        .size:           8
        .value_kind:     global_buffer
      - .actual_access:  read_only
        .address_space:  global
        .offset:         48
        .size:           8
        .value_kind:     global_buffer
      - .offset:         56
        .size:           4
        .value_kind:     by_value
      - .actual_access:  read_only
        .address_space:  global
        .offset:         64
        .size:           8
        .value_kind:     global_buffer
      - .actual_access:  read_only
        .address_space:  global
        .offset:         72
        .size:           8
        .value_kind:     global_buffer
      - .address_space:  global
        .offset:         80
        .size:           8
        .value_kind:     global_buffer
    .group_segment_fixed_size: 0
    .kernarg_segment_align: 8
    .kernarg_segment_size: 88
    .language:       OpenCL C
    .language_version:
      - 2
      - 0
    .max_flat_workgroup_size: 48
    .name:           fft_rtc_back_len768_factors_16_3_16_wgs_48_tpt_48_halfLds_half_ip_CI_sbrr_dirReg
    .private_segment_fixed_size: 0
    .sgpr_count:     30
    .sgpr_spill_count: 0
    .symbol:         fft_rtc_back_len768_factors_16_3_16_wgs_48_tpt_48_halfLds_half_ip_CI_sbrr_dirReg.kd
    .uniform_work_group_size: 1
    .uses_dynamic_stack: false
    .vgpr_count:     82
    .vgpr_spill_count: 0
    .wavefront_size: 64
amdhsa.target:   amdgcn-amd-amdhsa--gfx950
amdhsa.version:
  - 1
  - 2
...

	.end_amdgpu_metadata
